;; amdgpu-corpus repo=ROCm/rocFFT kind=compiled arch=gfx1030 opt=O3
	.text
	.amdgcn_target "amdgcn-amd-amdhsa--gfx1030"
	.amdhsa_code_object_version 6
	.protected	fft_rtc_fwd_len784_factors_2_2_2_2_7_7_wgs_56_tpt_56_halfLds_sp_ip_CI_unitstride_sbrr_C2R_dirReg ; -- Begin function fft_rtc_fwd_len784_factors_2_2_2_2_7_7_wgs_56_tpt_56_halfLds_sp_ip_CI_unitstride_sbrr_C2R_dirReg
	.globl	fft_rtc_fwd_len784_factors_2_2_2_2_7_7_wgs_56_tpt_56_halfLds_sp_ip_CI_unitstride_sbrr_C2R_dirReg
	.p2align	8
	.type	fft_rtc_fwd_len784_factors_2_2_2_2_7_7_wgs_56_tpt_56_halfLds_sp_ip_CI_unitstride_sbrr_C2R_dirReg,@function
fft_rtc_fwd_len784_factors_2_2_2_2_7_7_wgs_56_tpt_56_halfLds_sp_ip_CI_unitstride_sbrr_C2R_dirReg: ; @fft_rtc_fwd_len784_factors_2_2_2_2_7_7_wgs_56_tpt_56_halfLds_sp_ip_CI_unitstride_sbrr_C2R_dirReg
; %bb.0:
	s_clause 0x2
	s_load_dwordx4 s[8:11], s[4:5], 0x0
	s_load_dwordx2 s[2:3], s[4:5], 0x50
	s_load_dwordx2 s[12:13], s[4:5], 0x18
	v_mul_u32_u24_e32 v1, 0x493, v0
	v_mov_b32_e32 v3, 0
	v_add_nc_u32_sdwa v5, s6, v1 dst_sel:DWORD dst_unused:UNUSED_PAD src0_sel:DWORD src1_sel:WORD_1
	v_mov_b32_e32 v1, 0
	v_mov_b32_e32 v6, v3
	v_mov_b32_e32 v2, 0
	s_waitcnt lgkmcnt(0)
	v_cmp_lt_u64_e64 s0, s[10:11], 2
	s_and_b32 vcc_lo, exec_lo, s0
	s_cbranch_vccnz .LBB0_8
; %bb.1:
	s_load_dwordx2 s[0:1], s[4:5], 0x10
	v_mov_b32_e32 v1, 0
	s_add_u32 s6, s12, 8
	v_mov_b32_e32 v2, 0
	s_addc_u32 s7, s13, 0
	s_mov_b64 s[16:17], 1
	s_waitcnt lgkmcnt(0)
	s_add_u32 s14, s0, 8
	s_addc_u32 s15, s1, 0
.LBB0_2:                                ; =>This Inner Loop Header: Depth=1
	s_load_dwordx2 s[18:19], s[14:15], 0x0
                                        ; implicit-def: $vgpr7_vgpr8
	s_mov_b32 s0, exec_lo
	s_waitcnt lgkmcnt(0)
	v_or_b32_e32 v4, s19, v6
	v_cmpx_ne_u64_e32 0, v[3:4]
	s_xor_b32 s1, exec_lo, s0
	s_cbranch_execz .LBB0_4
; %bb.3:                                ;   in Loop: Header=BB0_2 Depth=1
	v_cvt_f32_u32_e32 v4, s18
	v_cvt_f32_u32_e32 v7, s19
	s_sub_u32 s0, 0, s18
	s_subb_u32 s20, 0, s19
	v_fmac_f32_e32 v4, 0x4f800000, v7
	v_rcp_f32_e32 v4, v4
	v_mul_f32_e32 v4, 0x5f7ffffc, v4
	v_mul_f32_e32 v7, 0x2f800000, v4
	v_trunc_f32_e32 v7, v7
	v_fmac_f32_e32 v4, 0xcf800000, v7
	v_cvt_u32_f32_e32 v7, v7
	v_cvt_u32_f32_e32 v4, v4
	v_mul_lo_u32 v8, s0, v7
	v_mul_hi_u32 v9, s0, v4
	v_mul_lo_u32 v10, s20, v4
	v_add_nc_u32_e32 v8, v9, v8
	v_mul_lo_u32 v9, s0, v4
	v_add_nc_u32_e32 v8, v8, v10
	v_mul_hi_u32 v10, v4, v9
	v_mul_lo_u32 v11, v4, v8
	v_mul_hi_u32 v12, v4, v8
	v_mul_hi_u32 v13, v7, v9
	v_mul_lo_u32 v9, v7, v9
	v_mul_hi_u32 v14, v7, v8
	v_mul_lo_u32 v8, v7, v8
	v_add_co_u32 v10, vcc_lo, v10, v11
	v_add_co_ci_u32_e32 v11, vcc_lo, 0, v12, vcc_lo
	v_add_co_u32 v9, vcc_lo, v10, v9
	v_add_co_ci_u32_e32 v9, vcc_lo, v11, v13, vcc_lo
	v_add_co_ci_u32_e32 v10, vcc_lo, 0, v14, vcc_lo
	v_add_co_u32 v8, vcc_lo, v9, v8
	v_add_co_ci_u32_e32 v9, vcc_lo, 0, v10, vcc_lo
	v_add_co_u32 v4, vcc_lo, v4, v8
	v_add_co_ci_u32_e32 v7, vcc_lo, v7, v9, vcc_lo
	v_mul_hi_u32 v8, s0, v4
	v_mul_lo_u32 v10, s20, v4
	v_mul_lo_u32 v9, s0, v7
	v_add_nc_u32_e32 v8, v8, v9
	v_mul_lo_u32 v9, s0, v4
	v_add_nc_u32_e32 v8, v8, v10
	v_mul_hi_u32 v10, v4, v9
	v_mul_lo_u32 v11, v4, v8
	v_mul_hi_u32 v12, v4, v8
	v_mul_hi_u32 v13, v7, v9
	v_mul_lo_u32 v9, v7, v9
	v_mul_hi_u32 v14, v7, v8
	v_mul_lo_u32 v8, v7, v8
	v_add_co_u32 v10, vcc_lo, v10, v11
	v_add_co_ci_u32_e32 v11, vcc_lo, 0, v12, vcc_lo
	v_add_co_u32 v9, vcc_lo, v10, v9
	v_add_co_ci_u32_e32 v9, vcc_lo, v11, v13, vcc_lo
	v_add_co_ci_u32_e32 v10, vcc_lo, 0, v14, vcc_lo
	v_add_co_u32 v8, vcc_lo, v9, v8
	v_add_co_ci_u32_e32 v9, vcc_lo, 0, v10, vcc_lo
	v_add_co_u32 v4, vcc_lo, v4, v8
	v_add_co_ci_u32_e32 v11, vcc_lo, v7, v9, vcc_lo
	v_mul_hi_u32 v13, v5, v4
	v_mad_u64_u32 v[9:10], null, v6, v4, 0
	v_mad_u64_u32 v[7:8], null, v5, v11, 0
	;; [unrolled: 1-line block ×3, first 2 shown]
	v_add_co_u32 v4, vcc_lo, v13, v7
	v_add_co_ci_u32_e32 v7, vcc_lo, 0, v8, vcc_lo
	v_add_co_u32 v4, vcc_lo, v4, v9
	v_add_co_ci_u32_e32 v4, vcc_lo, v7, v10, vcc_lo
	v_add_co_ci_u32_e32 v7, vcc_lo, 0, v12, vcc_lo
	v_add_co_u32 v4, vcc_lo, v4, v11
	v_add_co_ci_u32_e32 v9, vcc_lo, 0, v7, vcc_lo
	v_mul_lo_u32 v10, s19, v4
	v_mad_u64_u32 v[7:8], null, s18, v4, 0
	v_mul_lo_u32 v11, s18, v9
	v_sub_co_u32 v7, vcc_lo, v5, v7
	v_add3_u32 v8, v8, v11, v10
	v_sub_nc_u32_e32 v10, v6, v8
	v_subrev_co_ci_u32_e64 v10, s0, s19, v10, vcc_lo
	v_add_co_u32 v11, s0, v4, 2
	v_add_co_ci_u32_e64 v12, s0, 0, v9, s0
	v_sub_co_u32 v13, s0, v7, s18
	v_sub_co_ci_u32_e32 v8, vcc_lo, v6, v8, vcc_lo
	v_subrev_co_ci_u32_e64 v10, s0, 0, v10, s0
	v_cmp_le_u32_e32 vcc_lo, s18, v13
	v_cmp_eq_u32_e64 s0, s19, v8
	v_cndmask_b32_e64 v13, 0, -1, vcc_lo
	v_cmp_le_u32_e32 vcc_lo, s19, v10
	v_cndmask_b32_e64 v14, 0, -1, vcc_lo
	v_cmp_le_u32_e32 vcc_lo, s18, v7
	;; [unrolled: 2-line block ×3, first 2 shown]
	v_cndmask_b32_e64 v15, 0, -1, vcc_lo
	v_cmp_eq_u32_e32 vcc_lo, s19, v10
	v_cndmask_b32_e64 v7, v15, v7, s0
	v_cndmask_b32_e32 v10, v14, v13, vcc_lo
	v_add_co_u32 v13, vcc_lo, v4, 1
	v_add_co_ci_u32_e32 v14, vcc_lo, 0, v9, vcc_lo
	v_cmp_ne_u32_e32 vcc_lo, 0, v10
	v_cndmask_b32_e32 v8, v14, v12, vcc_lo
	v_cndmask_b32_e32 v10, v13, v11, vcc_lo
	v_cmp_ne_u32_e32 vcc_lo, 0, v7
	v_cndmask_b32_e32 v8, v9, v8, vcc_lo
	v_cndmask_b32_e32 v7, v4, v10, vcc_lo
.LBB0_4:                                ;   in Loop: Header=BB0_2 Depth=1
	s_andn2_saveexec_b32 s0, s1
	s_cbranch_execz .LBB0_6
; %bb.5:                                ;   in Loop: Header=BB0_2 Depth=1
	v_cvt_f32_u32_e32 v4, s18
	s_sub_i32 s1, 0, s18
	v_rcp_iflag_f32_e32 v4, v4
	v_mul_f32_e32 v4, 0x4f7ffffe, v4
	v_cvt_u32_f32_e32 v4, v4
	v_mul_lo_u32 v7, s1, v4
	v_mul_hi_u32 v7, v4, v7
	v_add_nc_u32_e32 v4, v4, v7
	v_mul_hi_u32 v4, v5, v4
	v_mul_lo_u32 v7, v4, s18
	v_add_nc_u32_e32 v8, 1, v4
	v_sub_nc_u32_e32 v7, v5, v7
	v_subrev_nc_u32_e32 v9, s18, v7
	v_cmp_le_u32_e32 vcc_lo, s18, v7
	v_cndmask_b32_e32 v7, v7, v9, vcc_lo
	v_cndmask_b32_e32 v4, v4, v8, vcc_lo
	v_cmp_le_u32_e32 vcc_lo, s18, v7
	v_add_nc_u32_e32 v8, 1, v4
	v_cndmask_b32_e32 v7, v4, v8, vcc_lo
	v_mov_b32_e32 v8, v3
.LBB0_6:                                ;   in Loop: Header=BB0_2 Depth=1
	s_or_b32 exec_lo, exec_lo, s0
	s_load_dwordx2 s[0:1], s[6:7], 0x0
	v_mul_lo_u32 v4, v8, s18
	v_mul_lo_u32 v11, v7, s19
	v_mad_u64_u32 v[9:10], null, v7, s18, 0
	s_add_u32 s16, s16, 1
	s_addc_u32 s17, s17, 0
	s_add_u32 s6, s6, 8
	s_addc_u32 s7, s7, 0
	;; [unrolled: 2-line block ×3, first 2 shown]
	v_add3_u32 v4, v10, v11, v4
	v_sub_co_u32 v5, vcc_lo, v5, v9
	v_sub_co_ci_u32_e32 v4, vcc_lo, v6, v4, vcc_lo
	s_waitcnt lgkmcnt(0)
	v_mul_lo_u32 v6, s1, v5
	v_mul_lo_u32 v4, s0, v4
	v_mad_u64_u32 v[1:2], null, s0, v5, v[1:2]
	v_cmp_ge_u64_e64 s0, s[16:17], s[10:11]
	s_and_b32 vcc_lo, exec_lo, s0
	v_add3_u32 v2, v6, v2, v4
	s_cbranch_vccnz .LBB0_9
; %bb.7:                                ;   in Loop: Header=BB0_2 Depth=1
	v_mov_b32_e32 v5, v7
	v_mov_b32_e32 v6, v8
	s_branch .LBB0_2
.LBB0_8:
	v_mov_b32_e32 v8, v6
	v_mov_b32_e32 v7, v5
.LBB0_9:
	s_lshl_b64 s[0:1], s[10:11], 3
	v_mul_hi_u32 v5, 0x4924925, v0
	s_add_u32 s0, s12, s0
	s_addc_u32 s1, s13, s1
	s_load_dwordx2 s[0:1], s[0:1], 0x0
	s_load_dwordx2 s[4:5], s[4:5], 0x20
	s_waitcnt lgkmcnt(0)
	v_mul_lo_u32 v3, s0, v8
	v_mul_lo_u32 v4, s1, v7
	v_mad_u64_u32 v[1:2], null, s0, v7, v[1:2]
	v_cmp_gt_u64_e32 vcc_lo, s[4:5], v[7:8]
	v_add3_u32 v2, v4, v2, v3
	v_mul_u32_u24_e32 v4, 56, v5
	v_lshlrev_b64 v[2:3], 3, v[1:2]
	v_sub_nc_u32_e32 v0, v0, v4
	s_and_saveexec_b32 s1, vcc_lo
	s_cbranch_execz .LBB0_13
; %bb.10:
	v_mov_b32_e32 v1, 0
	v_add_co_u32 v4, s0, s2, v2
	v_add_co_ci_u32_e64 v5, s0, s3, v3, s0
	v_lshlrev_b64 v[6:7], 3, v[0:1]
	v_or_b32_e32 v8, 0x1c0, v0
	v_mov_b32_e32 v9, v1
	v_lshl_add_u32 v34, v0, 3, 0
	s_mov_b32 s4, exec_lo
	v_add_co_u32 v6, s0, v4, v6
	v_add_co_ci_u32_e64 v7, s0, v5, v7, s0
	v_lshlrev_b64 v[8:9], 3, v[8:9]
	v_add_co_u32 v18, s0, 0x800, v6
	v_add_co_ci_u32_e64 v19, s0, 0, v7, s0
	s_clause 0x3
	global_load_dwordx2 v[10:11], v[6:7], off
	global_load_dwordx2 v[12:13], v[6:7], off offset:448
	global_load_dwordx2 v[14:15], v[6:7], off offset:896
	;; [unrolled: 1-line block ×3, first 2 shown]
	v_add_co_u32 v8, s0, v4, v8
	v_add_co_ci_u32_e64 v9, s0, v5, v9, s0
	v_add_co_u32 v20, s0, 0x1000, v6
	v_add_co_ci_u32_e64 v21, s0, 0, v7, s0
	s_clause 0x9
	global_load_dwordx2 v[6:7], v[6:7], off offset:1792
	global_load_dwordx2 v[22:23], v[18:19], off offset:192
	global_load_dwordx2 v[24:25], v[18:19], off offset:640
	global_load_dwordx2 v[26:27], v[18:19], off offset:1088
	global_load_dwordx2 v[28:29], v[20:21], off offset:384
	global_load_dwordx2 v[30:31], v[20:21], off offset:832
	global_load_dwordx2 v[8:9], v[8:9], off
	global_load_dwordx2 v[18:19], v[18:19], off offset:1984
	global_load_dwordx2 v[32:33], v[20:21], off offset:1280
	;; [unrolled: 1-line block ×3, first 2 shown]
	v_add_nc_u32_e32 v35, 0x400, v34
	v_add_nc_u32_e32 v36, 0x800, v34
	;; [unrolled: 1-line block ×3, first 2 shown]
	s_waitcnt vmcnt(12)
	ds_write2_b64 v34, v[10:11], v[12:13] offset1:56
	s_waitcnt vmcnt(10)
	ds_write2_b64 v34, v[14:15], v[16:17] offset0:112 offset1:168
	s_waitcnt vmcnt(8)
	ds_write2_b64 v35, v[6:7], v[22:23] offset0:96 offset1:152
	;; [unrolled: 2-line block ×4, first 2 shown]
	ds_write2_b64 v37, v[28:29], v[30:31] offset0:48 offset1:104
	s_waitcnt vmcnt(0)
	ds_write2_b64 v37, v[32:33], v[20:21] offset0:160 offset1:216
	v_cmpx_eq_u32_e32 55, v0
	s_cbranch_execz .LBB0_12
; %bb.11:
	v_add_co_u32 v4, s0, 0x1800, v4
	v_add_co_ci_u32_e64 v5, s0, 0, v5, s0
	v_mov_b32_e32 v0, 55
	global_load_dwordx2 v[4:5], v[4:5], off offset:128
	s_waitcnt vmcnt(0)
	ds_write_b64 v1, v[4:5] offset:6272
.LBB0_12:
	s_or_b32 exec_lo, exec_lo, s4
.LBB0_13:
	s_or_b32 exec_lo, exec_lo, s1
	v_lshlrev_b32_e32 v1, 3, v0
	s_waitcnt lgkmcnt(0)
	s_barrier
	buffer_gl0_inv
	s_add_u32 s1, s8, 0x1870
	v_add_nc_u32_e32 v8, 0, v1
	v_sub_nc_u32_e32 v9, 0, v1
	s_addc_u32 s4, s9, 0
	s_mov_b32 s5, exec_lo
                                        ; implicit-def: $vgpr6_vgpr7
	ds_read_b32 v10, v8
	ds_read_b32 v11, v9 offset:6272
	s_waitcnt lgkmcnt(0)
	v_add_f32_e32 v4, v11, v10
	v_sub_f32_e32 v5, v10, v11
	v_cmpx_ne_u32_e32 0, v0
	s_xor_b32 s5, exec_lo, s5
	s_cbranch_execz .LBB0_15
; %bb.14:
	v_mov_b32_e32 v1, 0
	v_add_f32_e32 v12, v11, v10
	v_sub_f32_e32 v13, v10, v11
	v_lshlrev_b64 v[4:5], 3, v[0:1]
	v_add_co_u32 v4, s0, s1, v4
	v_add_co_ci_u32_e64 v5, s0, s4, v5, s0
	global_load_dwordx2 v[6:7], v[4:5], off
	ds_read_b32 v4, v9 offset:6276
	ds_read_b32 v5, v8 offset:4
	s_waitcnt lgkmcnt(0)
	v_add_f32_e32 v14, v4, v5
	v_sub_f32_e32 v4, v5, v4
	s_waitcnt vmcnt(0)
	v_fma_f32 v10, -v13, v7, v12
	v_fma_f32 v11, v14, v7, -v4
	v_fma_f32 v15, v13, v7, v12
	v_fma_f32 v5, v14, v7, v4
	v_fmac_f32_e32 v10, v6, v14
	v_fmac_f32_e32 v11, v13, v6
	v_fma_f32 v4, -v6, v14, v15
	v_fmac_f32_e32 v5, v13, v6
	v_mov_b32_e32 v7, v1
	v_mov_b32_e32 v6, v0
	ds_write_b64 v9, v[10:11] offset:6272
.LBB0_15:
	s_andn2_saveexec_b32 s0, s5
	s_cbranch_execz .LBB0_17
; %bb.16:
	v_mov_b32_e32 v1, 0
	ds_read_b64 v[6:7], v1 offset:3136
	s_waitcnt lgkmcnt(0)
	v_add_f32_e32 v10, v6, v6
	v_mul_f32_e32 v11, -2.0, v7
	v_mov_b32_e32 v6, 0
	v_mov_b32_e32 v7, 0
	ds_write_b64 v1, v[10:11] offset:3136
.LBB0_17:
	s_or_b32 exec_lo, exec_lo, s0
	v_lshlrev_b64 v[6:7], 3, v[6:7]
	v_and_b32_e32 v44, 1, v0
	v_add_nc_u32_e32 v39, 0x70, v0
	v_add_nc_u32_e32 v40, 0xa8, v0
	;; [unrolled: 1-line block ×4, first 2 shown]
	v_add_co_u32 v6, s0, s1, v6
	v_add_co_ci_u32_e64 v7, s0, s4, v7, s0
	v_add_nc_u32_e32 v43, 0x150, v0
	v_lshlrev_b32_e32 v49, 3, v44
	v_lshl_add_u32 v38, v39, 4, 0
	s_clause 0x3
	global_load_dwordx2 v[10:11], v[6:7], off offset:448
	global_load_dwordx2 v[12:13], v[6:7], off offset:896
	;; [unrolled: 1-line block ×4, first 2 shown]
	v_add_co_u32 v6, s0, 0x800, v6
	v_add_co_ci_u32_e64 v7, s0, 0, v7, s0
	v_lshl_add_u32 v45, v40, 4, 0
	v_lshl_add_u32 v46, v41, 4, 0
	s_clause 0x1
	global_load_dwordx2 v[18:19], v[6:7], off offset:192
	global_load_dwordx2 v[20:21], v[6:7], off offset:640
	ds_write_b64 v8, v[4:5]
	ds_read_b64 v[4:5], v8 offset:448
	ds_read_b64 v[6:7], v9 offset:5824
	v_lshl_add_u32 v47, v42, 4, 0
	v_lshl_add_u32 v48, v43, 4, 0
	v_lshlrev_b32_e32 v39, 1, v39
	v_lshlrev_b32_e32 v40, 1, v40
	;; [unrolled: 1-line block ×5, first 2 shown]
	s_waitcnt lgkmcnt(0)
	v_add_f32_e32 v1, v4, v6
	v_add_f32_e32 v22, v7, v5
	v_sub_f32_e32 v23, v4, v6
	v_sub_f32_e32 v4, v5, v7
	s_waitcnt vmcnt(5)
	v_fma_f32 v24, v23, v11, v1
	v_fma_f32 v5, v22, v11, v4
	v_fma_f32 v6, -v23, v11, v1
	v_fma_f32 v7, v22, v11, -v4
	v_fma_f32 v4, -v10, v22, v24
	v_fmac_f32_e32 v5, v23, v10
	v_fmac_f32_e32 v6, v10, v22
	v_fmac_f32_e32 v7, v23, v10
	ds_write_b64 v8, v[4:5] offset:448
	ds_write_b64 v9, v[6:7] offset:5824
	ds_read_b64 v[4:5], v8 offset:896
	ds_read_b64 v[6:7], v9 offset:5376
	s_waitcnt lgkmcnt(0)
	v_add_f32_e32 v1, v4, v6
	v_add_f32_e32 v10, v7, v5
	v_sub_f32_e32 v11, v4, v6
	v_sub_f32_e32 v4, v5, v7
	s_waitcnt vmcnt(4)
	v_fma_f32 v22, v11, v13, v1
	v_fma_f32 v5, v10, v13, v4
	v_fma_f32 v6, -v11, v13, v1
	v_fma_f32 v7, v10, v13, -v4
	v_fma_f32 v4, -v12, v10, v22
	v_fmac_f32_e32 v5, v11, v12
	v_fmac_f32_e32 v6, v12, v10
	v_fmac_f32_e32 v7, v11, v12
	ds_write_b64 v8, v[4:5] offset:896
	ds_write_b64 v9, v[6:7] offset:5376
	ds_read_b64 v[4:5], v8 offset:1344
	ds_read_b64 v[6:7], v9 offset:4928
	;; [unrolled: 18-line block ×5, first 2 shown]
	s_waitcnt lgkmcnt(0)
	v_add_f32_e32 v1, v4, v6
	v_add_f32_e32 v12, v7, v5
	v_sub_f32_e32 v13, v4, v6
	v_sub_f32_e32 v4, v5, v7
	v_add_nc_u32_e32 v6, 56, v0
	s_waitcnt vmcnt(0)
	v_fma_f32 v7, v13, v21, v1
	v_fma_f32 v5, v12, v21, v4
	v_fma_f32 v10, -v13, v21, v1
	v_fma_f32 v11, v12, v21, -v4
	v_add_nc_u32_e32 v1, 0x800, v8
	v_fma_f32 v4, -v20, v12, v7
	v_fmac_f32_e32 v5, v13, v20
	v_fmac_f32_e32 v10, v20, v12
	;; [unrolled: 1-line block ×3, first 2 shown]
	ds_write_b64 v8, v[4:5] offset:2688
	ds_write_b64 v9, v[10:11] offset:3584
	v_add_nc_u32_e32 v4, 0x1000, v8
	v_add_nc_u32_e32 v5, 0x400, v8
	s_waitcnt lgkmcnt(0)
	s_barrier
	buffer_gl0_inv
	s_barrier
	buffer_gl0_inv
	ds_read2_b64 v[9:12], v8 offset1:56
	ds_read2_b64 v[13:16], v1 offset0:80 offset1:136
	ds_read2_b64 v[17:20], v1 offset0:192 offset1:248
	;; [unrolled: 1-line block ×6, first 2 shown]
	v_lshl_add_u32 v7, v0, 3, v8
	v_lshl_add_u32 v37, v6, 4, 0
	s_waitcnt lgkmcnt(0)
	s_barrier
	buffer_gl0_inv
	v_sub_f32_e32 v15, v9, v15
	v_sub_f32_e32 v16, v10, v16
	;; [unrolled: 1-line block ×14, first 2 shown]
	v_fma_f32 v9, v9, 2.0, -v15
	v_fma_f32 v10, v10, 2.0, -v16
	;; [unrolled: 1-line block ×14, first 2 shown]
	ds_write2_b64 v7, v[9:10], v[15:16] offset1:1
	ds_write2_b64 v37, v[11:12], v[17:18] offset1:1
	;; [unrolled: 1-line block ×7, first 2 shown]
	s_waitcnt lgkmcnt(0)
	s_barrier
	buffer_gl0_inv
	global_load_dwordx2 v[37:38], v49, s[8:9]
	v_lshlrev_b32_e32 v7, 1, v0
	ds_read2_b64 v[13:16], v1 offset0:192 offset1:248
	v_lshlrev_b32_e32 v46, 1, v6
	ds_read2_b64 v[17:20], v4 offset0:48 offset1:104
	v_and_or_b32 v22, 0x1fc, v39, v44
	v_and_or_b32 v9, 0x7c, v7, v44
	;; [unrolled: 1-line block ×6, first 2 shown]
	v_lshl_add_u32 v48, v9, 3, 0
	ds_read2_b64 v[9:12], v1 offset0:80 offset1:136
	v_and_or_b32 v26, 0x3fc, v43, v44
	v_lshl_add_u32 v44, v21, 3, 0
	v_lshl_add_u32 v49, v22, 3, 0
	v_lshl_add_u32 v50, v23, 3, 0
	v_lshl_add_u32 v51, v24, 3, 0
	v_lshl_add_u32 v52, v25, 3, 0
	v_lshl_add_u32 v53, v26, 3, 0
	ds_read2_b64 v[21:24], v8 offset1:56
	ds_read2_b64 v[25:28], v4 offset0:160 offset1:216
	ds_read2_b64 v[29:32], v8 offset0:112 offset1:168
	;; [unrolled: 1-line block ×3, first 2 shown]
	v_and_b32_e32 v45, 3, v0
	s_waitcnt vmcnt(0) lgkmcnt(0)
	s_barrier
	buffer_gl0_inv
	v_lshlrev_b32_e32 v47, 3, v45
	v_mul_f32_e32 v57, v38, v13
	v_mul_f32_e32 v56, v38, v14
	;; [unrolled: 1-line block ×7, first 2 shown]
	v_fmac_f32_e32 v57, v37, v14
	v_mul_f32_e32 v14, v38, v20
	v_fma_f32 v13, v37, v13, -v56
	v_mul_f32_e32 v56, v38, v17
	v_fma_f32 v15, v37, v15, -v58
	v_mul_f32_e32 v58, v38, v19
	v_fmac_f32_e32 v59, v37, v16
	v_mul_f32_e32 v16, v38, v26
	v_fma_f32 v17, v37, v17, -v60
	v_fma_f32 v19, v37, v19, -v14
	v_mul_f32_e32 v60, v38, v25
	v_mul_f32_e32 v14, v38, v28
	;; [unrolled: 1-line block ×3, first 2 shown]
	v_fma_f32 v11, v37, v11, -v54
	v_fmac_f32_e32 v55, v37, v12
	v_fmac_f32_e32 v56, v37, v18
	;; [unrolled: 1-line block ×3, first 2 shown]
	v_fma_f32 v25, v37, v25, -v16
	v_fmac_f32_e32 v60, v37, v26
	v_fma_f32 v37, v37, v27, -v14
	v_fmac_f32_e32 v28, v38, v27
	v_sub_f32_e32 v11, v21, v11
	v_sub_f32_e32 v12, v22, v55
	;; [unrolled: 1-line block ×14, first 2 shown]
	v_fma_f32 v21, v21, 2.0, -v11
	v_fma_f32 v22, v22, 2.0, -v12
	;; [unrolled: 1-line block ×14, first 2 shown]
	ds_write2_b64 v48, v[21:22], v[11:12] offset1:2
	ds_write2_b64 v44, v[23:24], v[13:14] offset1:2
	;; [unrolled: 1-line block ×7, first 2 shown]
	s_waitcnt lgkmcnt(0)
	s_barrier
	buffer_gl0_inv
	global_load_dwordx2 v[37:38], v47, s[8:9] offset:16
	v_and_or_b32 v9, 0x78, v7, v45
	ds_read2_b64 v[13:16], v1 offset0:192 offset1:248
	ds_read2_b64 v[17:20], v4 offset0:48 offset1:104
	v_and_or_b32 v21, 0xf8, v46, v45
	v_and_or_b32 v22, 0x1f8, v39, v45
	v_lshl_add_u32 v48, v9, 3, 0
	ds_read2_b64 v[9:12], v1 offset0:80 offset1:136
	v_and_or_b32 v23, 0x1f8, v40, v45
	v_and_or_b32 v24, 0x3f8, v41, v45
	;; [unrolled: 1-line block ×4, first 2 shown]
	v_lshl_add_u32 v45, v21, 3, 0
	v_lshl_add_u32 v49, v22, 3, 0
	;; [unrolled: 1-line block ×6, first 2 shown]
	ds_read2_b64 v[21:24], v8 offset1:56
	ds_read2_b64 v[25:28], v4 offset0:160 offset1:216
	ds_read2_b64 v[29:32], v8 offset0:112 offset1:168
	ds_read2_b64 v[33:36], v5 offset0:96 offset1:152
	v_and_b32_e32 v44, 7, v0
	s_waitcnt vmcnt(0) lgkmcnt(0)
	s_barrier
	buffer_gl0_inv
	v_lshlrev_b32_e32 v47, 3, v44
	v_and_or_b32 v7, 0x70, v7, v44
	v_lshl_add_u32 v7, v7, 3, 0
	v_mul_f32_e32 v57, v38, v13
	v_mul_f32_e32 v56, v38, v14
	;; [unrolled: 1-line block ×7, first 2 shown]
	v_fmac_f32_e32 v57, v37, v14
	v_mul_f32_e32 v14, v38, v20
	v_fma_f32 v13, v37, v13, -v56
	v_mul_f32_e32 v56, v38, v17
	v_fma_f32 v15, v37, v15, -v58
	v_mul_f32_e32 v58, v38, v19
	v_fmac_f32_e32 v59, v37, v16
	v_mul_f32_e32 v16, v38, v26
	v_fma_f32 v17, v37, v17, -v60
	v_fma_f32 v19, v37, v19, -v14
	v_mul_f32_e32 v60, v38, v25
	v_mul_f32_e32 v14, v38, v28
	;; [unrolled: 1-line block ×3, first 2 shown]
	v_fma_f32 v11, v37, v11, -v54
	v_fmac_f32_e32 v55, v37, v12
	v_fmac_f32_e32 v56, v37, v18
	v_fmac_f32_e32 v58, v37, v20
	v_fma_f32 v25, v37, v25, -v16
	v_fmac_f32_e32 v60, v37, v26
	v_fma_f32 v37, v37, v27, -v14
	v_fmac_f32_e32 v28, v38, v27
	v_sub_f32_e32 v11, v21, v11
	v_sub_f32_e32 v12, v22, v55
	;; [unrolled: 1-line block ×14, first 2 shown]
	v_fma_f32 v21, v21, 2.0, -v11
	v_fma_f32 v22, v22, 2.0, -v12
	;; [unrolled: 1-line block ×14, first 2 shown]
	ds_write2_b64 v48, v[21:22], v[11:12] offset1:4
	ds_write2_b64 v45, v[23:24], v[13:14] offset1:4
	;; [unrolled: 1-line block ×7, first 2 shown]
	s_waitcnt lgkmcnt(0)
	s_barrier
	buffer_gl0_inv
	global_load_dwordx2 v[37:38], v47, s[8:9] offset:48
	v_and_b32_e32 v45, 15, v0
	v_and_or_b32 v18, 0xf0, v46, v44
	v_and_or_b32 v21, 0x1f0, v39, v44
	;; [unrolled: 1-line block ×4, first 2 shown]
	v_mul_u32_u24_e32 v17, 6, v45
	ds_read2_b64 v[13:16], v1 offset0:192 offset1:248
	ds_read2_b64 v[9:12], v1 offset0:80 offset1:136
	v_and_b32_e32 v47, 15, v6
	v_lshl_add_u32 v40, v18, 3, 0
	v_lshlrev_b32_e32 v39, 3, v17
	ds_read2_b64 v[17:20], v4 offset0:48 offset1:104
	v_and_or_b32 v25, 0x2f0, v42, v44
	v_and_or_b32 v26, 0x3f0, v43, v44
	v_lshl_add_u32 v41, v21, 3, 0
	v_lshl_add_u32 v42, v22, 3, 0
	v_lshl_add_u32 v43, v23, 3, 0
	ds_read2_b64 v[21:24], v4 offset0:160 offset1:216
	v_mul_u32_u24_e32 v27, 6, v47
	v_lshl_add_u32 v44, v25, 3, 0
	v_lshl_add_u32 v46, v26, 3, 0
	v_lshrrev_b32_e32 v6, 4, v6
	v_lshlrev_b32_e32 v48, 3, v27
	ds_read2_b64 v[25:28], v8 offset1:56
	ds_read2_b64 v[29:32], v8 offset0:112 offset1:168
	ds_read2_b64 v[33:36], v5 offset0:96 offset1:152
	s_waitcnt vmcnt(0) lgkmcnt(0)
	s_barrier
	buffer_gl0_inv
	v_mul_u32_u24_e32 v6, 0x70, v6
	v_mul_f32_e32 v52, v38, v13
	v_mul_f32_e32 v49, v38, v12
	;; [unrolled: 1-line block ×12, first 2 shown]
	v_fmac_f32_e32 v52, v37, v14
	v_mul_f32_e32 v14, v38, v24
	v_mul_f32_e32 v24, v37, v24
	v_fma_f32 v11, v37, v11, -v49
	v_fmac_f32_e32 v50, v37, v12
	v_fma_f32 v13, v37, v13, -v51
	v_fma_f32 v15, v37, v15, -v53
	v_fmac_f32_e32 v54, v37, v16
	v_fma_f32 v17, v37, v17, -v55
	v_fmac_f32_e32 v56, v37, v18
	;; [unrolled: 2-line block ×5, first 2 shown]
	v_sub_f32_e32 v11, v25, v11
	v_sub_f32_e32 v12, v26, v50
	;; [unrolled: 1-line block ×14, first 2 shown]
	v_fma_f32 v25, v25, 2.0, -v11
	v_fma_f32 v26, v26, 2.0, -v12
	;; [unrolled: 1-line block ×14, first 2 shown]
	ds_write2_b64 v7, v[25:26], v[11:12] offset1:8
	ds_write2_b64 v40, v[27:28], v[13:14] offset1:8
	;; [unrolled: 1-line block ×7, first 2 shown]
	s_waitcnt lgkmcnt(0)
	s_barrier
	buffer_gl0_inv
	s_clause 0x5
	global_load_dwordx4 v[9:12], v39, s[8:9] offset:112
	global_load_dwordx4 v[13:16], v48, s[8:9] offset:112
	;; [unrolled: 1-line block ×6, first 2 shown]
	ds_read2_b64 v[33:36], v8 offset0:112 offset1:168
	ds_read2_b64 v[37:40], v5 offset0:96 offset1:152
	v_lshrrev_b32_e32 v7, 4, v0
	v_mul_u32_u24_e32 v41, 6, v0
	v_or_b32_e32 v53, v6, v47
	v_mul_u32_u24_e32 v7, 0x70, v7
	v_lshlrev_b32_e32 v49, 3, v41
	v_lshl_add_u32 v53, v53, 3, 0
	v_or_b32_e32 v7, v7, v45
	ds_read2_b64 v[41:44], v1 offset0:80 offset1:136
	ds_read2_b64 v[45:48], v1 offset0:192 offset1:248
	v_add_co_u32 v50, s0, s8, v49
	v_add_co_ci_u32_e64 v51, null, s9, 0, s0
	v_lshl_add_u32 v52, v7, 3, 0
	v_add_co_u32 v6, s0, 0x800, v50
	v_add_co_ci_u32_e64 v7, s0, 0, v51, s0
	s_waitcnt vmcnt(5) lgkmcnt(3)
	v_mul_f32_e32 v54, v10, v34
	v_mul_f32_e32 v55, v10, v33
	s_waitcnt lgkmcnt(2)
	v_mul_f32_e32 v10, v12, v38
	v_mul_f32_e32 v56, v12, v37
	s_waitcnt vmcnt(4)
	v_mul_f32_e32 v12, v36, v14
	v_mul_f32_e32 v57, v35, v14
	;; [unrolled: 1-line block ×3, first 2 shown]
	v_fmac_f32_e32 v55, v9, v34
	v_fma_f32 v34, v11, v37, -v10
	v_mul_f32_e32 v37, v39, v16
	v_fma_f32 v33, v9, v33, -v54
	v_fmac_f32_e32 v56, v11, v38
	v_fma_f32 v35, v35, v13, -v12
	v_fmac_f32_e32 v57, v36, v13
	ds_read2_b64 v[9:12], v4 offset0:48 offset1:104
	v_fma_f32 v36, v39, v15, -v14
	v_fmac_f32_e32 v37, v40, v15
	ds_read2_b64 v[13:16], v4 offset0:160 offset1:216
	s_waitcnt vmcnt(3) lgkmcnt(3)
	v_mul_f32_e32 v39, v18, v41
	v_mul_f32_e32 v38, v18, v42
	s_waitcnt lgkmcnt(2)
	v_mul_f32_e32 v18, v20, v46
	v_mul_f32_e32 v40, v20, v45
	v_fmac_f32_e32 v39, v17, v42
	s_waitcnt vmcnt(2)
	v_mul_f32_e32 v42, v44, v22
	v_mul_f32_e32 v22, v43, v22
	v_fma_f32 v38, v17, v41, -v38
	v_fma_f32 v41, v19, v45, -v18
	v_mul_f32_e32 v45, v48, v24
	v_fma_f32 v42, v43, v21, -v42
	v_fmac_f32_e32 v22, v44, v21
	v_mul_f32_e32 v21, v47, v24
	v_fmac_f32_e32 v40, v19, v46
	v_fma_f32 v44, v47, v23, -v45
	s_waitcnt vmcnt(1) lgkmcnt(1)
	v_mul_f32_e32 v24, v26, v10
	v_mul_f32_e32 v26, v26, v9
	v_fmac_f32_e32 v21, v48, v23
	s_waitcnt lgkmcnt(0)
	v_mul_f32_e32 v43, v14, v28
	v_mul_f32_e32 v23, v13, v28
	s_waitcnt vmcnt(0)
	v_mul_f32_e32 v28, v12, v30
	v_mul_f32_e32 v30, v11, v30
	;; [unrolled: 1-line block ×4, first 2 shown]
	ds_read2_b64 v[17:20], v8 offset1:56
	v_fma_f32 v9, v25, v9, -v24
	v_fmac_f32_e32 v26, v25, v10
	v_fma_f32 v10, v13, v27, -v43
	v_fmac_f32_e32 v23, v14, v27
	;; [unrolled: 2-line block ×4, first 2 shown]
	v_add_f32_e32 v13, v33, v10
	v_add_f32_e32 v14, v55, v23
	v_sub_f32_e32 v15, v55, v23
	v_add_f32_e32 v16, v34, v9
	v_add_f32_e32 v23, v56, v26
	v_sub_f32_e32 v10, v33, v10
	v_sub_f32_e32 v9, v34, v9
	;; [unrolled: 1-line block ×3, first 2 shown]
	v_add_f32_e32 v25, v38, v41
	v_add_f32_e32 v26, v39, v40
	v_sub_f32_e32 v27, v41, v38
	v_sub_f32_e32 v28, v40, v39
	v_add_f32_e32 v29, v35, v12
	v_add_f32_e32 v31, v57, v32
	;; [unrolled: 1-line block ×4, first 2 shown]
	v_sub_f32_e32 v32, v57, v32
	v_sub_f32_e32 v11, v36, v11
	;; [unrolled: 1-line block ×3, first 2 shown]
	v_add_f32_e32 v36, v22, v21
	v_sub_f32_e32 v21, v21, v22
	v_add_f32_e32 v22, v16, v13
	v_add_f32_e32 v38, v23, v14
	v_sub_f32_e32 v12, v35, v12
	v_add_f32_e32 v35, v42, v44
	v_sub_f32_e32 v37, v44, v42
	v_sub_f32_e32 v39, v16, v13
	;; [unrolled: 1-line block ×6, first 2 shown]
	v_add_f32_e32 v41, v27, v9
	v_add_f32_e32 v42, v28, v24
	v_sub_f32_e32 v43, v27, v9
	v_sub_f32_e32 v44, v28, v24
	;; [unrolled: 1-line block ×4, first 2 shown]
	v_add_f32_e32 v9, v33, v29
	v_add_f32_e32 v46, v34, v31
	v_sub_f32_e32 v23, v26, v23
	v_add_f32_e32 v55, v21, v30
	v_sub_f32_e32 v57, v21, v30
	v_sub_f32_e32 v30, v30, v32
	v_add_f32_e32 v22, v25, v22
	v_add_f32_e32 v25, v26, v38
	v_sub_f32_e32 v28, v15, v28
	v_sub_f32_e32 v47, v33, v29
	;; [unrolled: 1-line block ×7, first 2 shown]
	v_add_f32_e32 v54, v37, v11
	v_sub_f32_e32 v56, v37, v11
	v_sub_f32_e32 v58, v11, v12
	v_add_f32_e32 v15, v42, v15
	v_mul_f32_e32 v11, 0x3f4a47b2, v13
	v_mul_f32_e32 v13, 0x3f4a47b2, v14
	v_mul_f32_e32 v14, 0x3d64c772, v16
	v_mul_f32_e32 v42, 0xbf08b237, v44
	v_mul_f32_e32 v44, 0x3f5ff5aa, v24
	v_add_f32_e32 v35, v35, v9
	v_add_f32_e32 v36, v36, v46
	v_sub_f32_e32 v27, v10, v27
	v_sub_f32_e32 v21, v32, v21
	v_add_f32_e32 v26, v41, v10
	v_mul_f32_e32 v38, 0x3d64c772, v23
	v_mul_f32_e32 v41, 0xbf08b237, v43
	;; [unrolled: 1-line block ×5, first 2 shown]
	s_waitcnt lgkmcnt(0)
	v_add_f32_e32 v9, v22, v17
	v_add_f32_e32 v10, v25, v18
	v_sub_f32_e32 v37, v12, v37
	v_add_f32_e32 v46, v54, v12
	v_mul_f32_e32 v29, 0x3f4a47b2, v29
	v_mul_f32_e32 v31, 0x3f4a47b2, v31
	;; [unrolled: 1-line block ×4, first 2 shown]
	v_fmamk_f32 v16, v16, 0x3d64c772, v11
	v_fmamk_f32 v17, v23, 0x3d64c772, v13
	v_fma_f32 v14, 0x3f3bfb3b, v39, -v14
	v_fma_f32 v23, 0xbf3bfb3b, v39, -v11
	v_fmamk_f32 v39, v28, 0x3eae86e6, v42
	v_fma_f32 v24, 0x3f5ff5aa, v24, -v42
	v_fma_f32 v28, 0xbeae86e6, v28, -v44
	v_add_f32_e32 v11, v35, v19
	v_add_f32_e32 v12, v36, v20
	v_add_f32_e32 v32, v55, v32
	v_mul_f32_e32 v54, 0x3d64c772, v33
	v_mul_f32_e32 v55, 0x3d64c772, v34
	v_fma_f32 v18, 0x3f3bfb3b, v40, -v38
	v_fma_f32 v13, 0xbf3bfb3b, v40, -v13
	v_fmamk_f32 v38, v27, 0x3eae86e6, v41
	v_fma_f32 v40, 0x3f5ff5aa, v45, -v41
	v_fma_f32 v27, 0xbeae86e6, v27, -v43
	v_fmamk_f32 v42, v21, 0x3eae86e6, v57
	v_fma_f32 v45, 0xbeae86e6, v21, -v60
	v_fmamk_f32 v21, v22, 0xbf955555, v9
	v_fmamk_f32 v22, v25, 0xbf955555, v10
	v_fma_f32 v44, 0x3f5ff5aa, v30, -v57
	v_fmamk_f32 v19, v33, 0x3d64c772, v29
	v_fmamk_f32 v20, v34, 0x3d64c772, v31
	;; [unrolled: 1-line block ×3, first 2 shown]
	v_fma_f32 v43, 0x3f5ff5aa, v58, -v56
	v_fma_f32 v37, 0xbeae86e6, v37, -v59
	v_fmac_f32_e32 v39, 0x3ee1c552, v15
	v_fmac_f32_e32 v24, 0x3ee1c552, v15
	;; [unrolled: 1-line block ×3, first 2 shown]
	v_fmamk_f32 v15, v35, 0xbf955555, v11
	v_fmamk_f32 v25, v36, 0xbf955555, v12
	v_fma_f32 v33, 0x3f3bfb3b, v47, -v54
	v_fma_f32 v34, 0x3f3bfb3b, v48, -v55
	;; [unrolled: 1-line block ×4, first 2 shown]
	v_fmac_f32_e32 v38, 0x3ee1c552, v26
	v_fmac_f32_e32 v40, 0x3ee1c552, v26
	;; [unrolled: 1-line block ×3, first 2 shown]
	v_add_f32_e32 v26, v16, v21
	v_add_f32_e32 v30, v17, v22
	v_fmac_f32_e32 v42, 0x3ee1c552, v32
	v_fmac_f32_e32 v44, 0x3ee1c552, v32
	;; [unrolled: 1-line block ×3, first 2 shown]
	v_add_f32_e32 v32, v14, v21
	v_add_f32_e32 v35, v18, v22
	;; [unrolled: 1-line block ×4, first 2 shown]
	v_fmac_f32_e32 v41, 0x3ee1c552, v46
	v_fmac_f32_e32 v43, 0x3ee1c552, v46
	;; [unrolled: 1-line block ×3, first 2 shown]
	v_add_f32_e32 v36, v19, v15
	v_add_f32_e32 v46, v20, v25
	;; [unrolled: 1-line block ×7, first 2 shown]
	v_sub_f32_e32 v14, v30, v38
	v_add_f32_e32 v15, v28, v21
	v_sub_f32_e32 v16, v22, v27
	v_sub_f32_e32 v17, v32, v24
	v_add_f32_e32 v18, v40, v35
	v_add_f32_e32 v19, v24, v32
	v_sub_f32_e32 v20, v35, v40
	v_sub_f32_e32 v21, v21, v28
	v_add_f32_e32 v22, v27, v22
	v_sub_f32_e32 v23, v26, v39
	v_add_f32_e32 v24, v38, v30
	v_add_f32_e32 v25, v42, v36
	v_sub_f32_e32 v26, v46, v41
	s_barrier
	buffer_gl0_inv
	v_add_f32_e32 v27, v45, v47
	v_sub_f32_e32 v28, v48, v37
	v_sub_f32_e32 v29, v33, v44
	v_add_f32_e32 v30, v43, v34
	v_add_f32_e32 v31, v44, v33
	v_sub_f32_e32 v32, v34, v43
	v_sub_f32_e32 v33, v47, v45
	v_add_f32_e32 v34, v37, v48
	v_sub_f32_e32 v35, v36, v42
	v_add_f32_e32 v36, v41, v46
	ds_write2_b64 v52, v[9:10], v[13:14] offset1:16
	ds_write2_b64 v52, v[15:16], v[17:18] offset0:32 offset1:48
	ds_write2_b64 v52, v[19:20], v[21:22] offset0:64 offset1:80
	ds_write_b64 v52, v[23:24] offset:768
	ds_write2_b64 v53, v[11:12], v[25:26] offset1:16
	ds_write2_b64 v53, v[27:28], v[29:30] offset0:32 offset1:48
	ds_write2_b64 v53, v[31:32], v[33:34] offset0:64 offset1:80
	ds_write_b64 v53, v[35:36] offset:768
	s_waitcnt lgkmcnt(0)
	s_barrier
	buffer_gl0_inv
	s_clause 0x2
	global_load_dwordx4 v[9:12], v49, s[8:9] offset:880
	global_load_dwordx4 v[13:16], v[6:7], off offset:1520
	global_load_dwordx4 v[17:20], v49, s[8:9] offset:896
	v_add_co_u32 v6, s0, 0xdf0, v50
	v_add_co_ci_u32_e64 v7, s0, 0, v51, s0
	s_clause 0x2
	global_load_dwordx4 v[21:24], v49, s[8:9] offset:912
	global_load_dwordx4 v[25:28], v[6:7], off offset:16
	global_load_dwordx4 v[29:32], v[6:7], off offset:32
	ds_read2_b64 v[33:36], v8 offset0:112 offset1:168
	ds_read2_b64 v[37:40], v5 offset0:96 offset1:152
	ds_read2_b64 v[41:44], v1 offset0:80 offset1:136
	ds_read2_b64 v[45:48], v1 offset0:192 offset1:248
	ds_read2_b64 v[49:52], v4 offset0:48 offset1:104
	ds_read2_b64 v[53:56], v4 offset0:160 offset1:216
	s_waitcnt vmcnt(5) lgkmcnt(5)
	v_mul_f32_e32 v7, v10, v33
	s_waitcnt vmcnt(4)
	v_mul_f32_e32 v58, v36, v14
	v_mul_f32_e32 v14, v35, v14
	;; [unrolled: 1-line block ×3, first 2 shown]
	s_waitcnt lgkmcnt(4)
	v_mul_f32_e32 v10, v12, v38
	v_fmac_f32_e32 v7, v9, v34
	v_fma_f32 v34, v35, v13, -v58
	v_fmac_f32_e32 v14, v36, v13
	v_mul_f32_e32 v13, v40, v16
	v_mul_f32_e32 v16, v39, v16
	;; [unrolled: 1-line block ×3, first 2 shown]
	v_fma_f32 v6, v9, v33, -v6
	v_fma_f32 v33, v11, v37, -v10
	s_waitcnt vmcnt(3) lgkmcnt(3)
	v_mul_f32_e32 v35, v18, v42
	v_mul_f32_e32 v18, v18, v41
	v_fma_f32 v13, v39, v15, -v13
	v_fmac_f32_e32 v16, v40, v15
	s_waitcnt lgkmcnt(2)
	v_mul_f32_e32 v15, v20, v46
	v_mul_f32_e32 v20, v20, v45
	s_waitcnt vmcnt(2) lgkmcnt(1)
	v_mul_f32_e32 v36, v22, v50
	v_mul_f32_e32 v22, v22, v49
	s_waitcnt lgkmcnt(0)
	v_mul_f32_e32 v37, v54, v24
	v_mul_f32_e32 v24, v53, v24
	v_fmac_f32_e32 v57, v11, v38
	s_waitcnt vmcnt(1)
	v_mul_f32_e32 v38, v44, v26
	v_mul_f32_e32 v26, v43, v26
	v_fma_f32 v35, v17, v41, -v35
	v_fmac_f32_e32 v18, v17, v42
	v_fma_f32 v15, v19, v45, -v15
	v_fmac_f32_e32 v20, v19, v46
	v_mul_f32_e32 v17, v48, v28
	v_mul_f32_e32 v19, v47, v28
	s_waitcnt vmcnt(0)
	v_mul_f32_e32 v28, v52, v30
	v_mul_f32_e32 v30, v51, v30
	v_fma_f32 v36, v21, v49, -v36
	v_fmac_f32_e32 v22, v21, v50
	v_fma_f32 v21, v53, v23, -v37
	v_fmac_f32_e32 v24, v54, v23
	v_mul_f32_e32 v23, v56, v32
	v_mul_f32_e32 v32, v55, v32
	ds_read2_b64 v[9:12], v8 offset1:56
	v_fma_f32 v37, v43, v25, -v38
	v_fmac_f32_e32 v26, v44, v25
	v_fma_f32 v25, v51, v29, -v28
	v_fmac_f32_e32 v30, v52, v29
	;; [unrolled: 2-line block ×4, first 2 shown]
	v_add_f32_e32 v27, v6, v21
	v_add_f32_e32 v28, v7, v24
	v_sub_f32_e32 v6, v6, v21
	v_sub_f32_e32 v7, v7, v24
	v_add_f32_e32 v21, v33, v36
	v_add_f32_e32 v24, v57, v22
	v_sub_f32_e32 v29, v33, v36
	v_add_f32_e32 v31, v35, v15
	v_add_f32_e32 v33, v18, v20
	v_sub_f32_e32 v15, v15, v35
	v_sub_f32_e32 v18, v20, v18
	v_add_f32_e32 v20, v34, v23
	v_add_f32_e32 v35, v14, v32
	v_sub_f32_e32 v23, v34, v23
	;; [unrolled: 4-line block ×3, first 2 shown]
	v_sub_f32_e32 v13, v13, v25
	v_sub_f32_e32 v16, v16, v30
	v_add_f32_e32 v25, v37, v17
	v_add_f32_e32 v30, v26, v19
	v_sub_f32_e32 v17, v17, v37
	v_sub_f32_e32 v19, v19, v26
	v_add_f32_e32 v26, v21, v27
	v_add_f32_e32 v36, v24, v28
	;; [unrolled: 1-line block ×4, first 2 shown]
	v_sub_f32_e32 v37, v21, v27
	v_sub_f32_e32 v38, v24, v28
	;; [unrolled: 1-line block ×6, first 2 shown]
	v_add_f32_e32 v39, v15, v29
	v_add_f32_e32 v40, v18, v22
	v_sub_f32_e32 v41, v15, v29
	v_sub_f32_e32 v42, v18, v22
	;; [unrolled: 1-line block ×10, first 2 shown]
	v_add_f32_e32 v47, v17, v13
	v_add_f32_e32 v48, v19, v16
	v_sub_f32_e32 v49, v17, v13
	v_sub_f32_e32 v50, v19, v16
	;; [unrolled: 1-line block ×4, first 2 shown]
	v_add_f32_e32 v26, v31, v26
	v_add_f32_e32 v31, v33, v36
	;; [unrolled: 1-line block ×4, first 2 shown]
	v_sub_f32_e32 v15, v6, v15
	v_sub_f32_e32 v18, v7, v18
	;; [unrolled: 1-line block ×4, first 2 shown]
	v_add_f32_e32 v33, v39, v6
	v_add_f32_e32 v36, v40, v7
	v_mul_f32_e32 v27, 0x3f4a47b2, v27
	v_mul_f32_e32 v28, 0x3f4a47b2, v28
	;; [unrolled: 1-line block ×8, first 2 shown]
	v_add_f32_e32 v23, v47, v23
	v_add_f32_e32 v14, v48, v14
	v_mul_f32_e32 v20, 0x3f4a47b2, v20
	v_mul_f32_e32 v35, 0x3f4a47b2, v35
	v_mul_f32_e32 v43, 0x3d64c772, v32
	v_mul_f32_e32 v44, 0x3d64c772, v34
	v_mul_f32_e32 v47, 0xbf08b237, v49
	v_mul_f32_e32 v48, 0xbf08b237, v50
	v_mul_f32_e32 v49, 0x3f5ff5aa, v13
	v_mul_f32_e32 v50, 0x3f5ff5aa, v16
	s_waitcnt lgkmcnt(0)
	v_add_f32_e32 v6, v26, v9
	v_add_f32_e32 v7, v31, v10
	;; [unrolled: 1-line block ×4, first 2 shown]
	v_fmamk_f32 v21, v21, 0x3d64c772, v27
	v_fmamk_f32 v24, v24, 0x3d64c772, v28
	v_fma_f32 v39, 0x3f3bfb3b, v37, -v39
	v_fma_f32 v40, 0x3f3bfb3b, v38, -v40
	v_fma_f32 v27, 0xbf3bfb3b, v37, -v27
	v_fma_f32 v28, 0xbf3bfb3b, v38, -v28
	v_fmamk_f32 v37, v15, 0x3eae86e6, v41
	v_fmamk_f32 v38, v18, 0x3eae86e6, v42
	v_fma_f32 v29, 0x3f5ff5aa, v29, -v41
	v_fma_f32 v22, 0x3f5ff5aa, v22, -v42
	v_fma_f32 v41, 0xbeae86e6, v15, -v51
	v_fma_f32 v15, 0xbeae86e6, v18, -v52
	;; [unrolled: 6-line block ×4, first 2 shown]
	v_fmamk_f32 v13, v26, 0xbf955555, v6
	v_fmamk_f32 v16, v31, 0xbf955555, v7
	;; [unrolled: 1-line block ×4, first 2 shown]
	v_fmac_f32_e32 v37, 0x3ee1c552, v33
	v_fmac_f32_e32 v38, 0x3ee1c552, v36
	;; [unrolled: 1-line block ×6, first 2 shown]
	v_add_f32_e32 v21, v21, v13
	v_add_f32_e32 v23, v24, v16
	v_add_f32_e32 v30, v11, v17
	v_add_f32_e32 v31, v12, v19
	v_fmac_f32_e32 v22, 0x3ee1c552, v36
	v_fmac_f32_e32 v41, 0x3ee1c552, v33
	;; [unrolled: 1-line block ×5, first 2 shown]
	v_add_f32_e32 v14, v39, v13
	v_add_f32_e32 v24, v40, v16
	;; [unrolled: 1-line block ×7, first 2 shown]
	v_fmac_f32_e32 v29, 0x3ee1c552, v33
	v_add_f32_e32 v26, v18, v17
	s_barrier
	buffer_gl0_inv
	ds_write2_b64 v8, v[6:7], v[9:10] offset1:56
	v_add_f32_e32 v6, v38, v21
	v_sub_f32_e32 v7, v23, v37
	v_add_f32_e32 v19, v42, v30
	v_sub_f32_e32 v20, v31, v35
	;; [unrolled: 2-line block ×3, first 2 shown]
	v_sub_f32_e32 v11, v14, v22
	v_add_f32_e32 v13, v22, v14
	v_sub_f32_e32 v17, v21, v38
	v_add_f32_e32 v21, v46, v28
	;; [unrolled: 2-line block ×9, first 2 shown]
	ds_write2_b64 v8, v[6:7], v[19:20] offset0:112 offset1:168
	ds_write2_b64 v5, v[9:10], v[21:22] offset0:96 offset1:152
	;; [unrolled: 1-line block ×6, first 2 shown]
	s_waitcnt lgkmcnt(0)
	s_barrier
	buffer_gl0_inv
	s_and_saveexec_b32 s0, vcc_lo
	s_cbranch_execz .LBB0_19
; %bb.18:
	v_lshl_add_u32 v22, v0, 3, 0
	v_mov_b32_e32 v1, 0
	v_add_co_u32 v23, vcc_lo, s2, v2
	v_add_co_ci_u32_e32 v24, vcc_lo, s3, v3, vcc_lo
	ds_read2_b64 v[4:7], v22 offset1:56
	v_add_nc_u32_e32 v2, 56, v0
	v_lshlrev_b64 v[16:17], 3, v[0:1]
	v_mov_b32_e32 v3, v1
	v_add_nc_u32_e32 v20, 0x400, v22
	v_add_nc_u32_e32 v12, 0x70, v0
	v_mov_b32_e32 v13, v1
	ds_read2_b64 v[8:11], v22 offset0:112 offset1:168
	v_lshlrev_b64 v[2:3], 3, v[2:3]
	v_add_co_u32 v16, vcc_lo, v23, v16
	v_add_co_ci_u32_e32 v17, vcc_lo, v24, v17, vcc_lo
	v_add_nc_u32_e32 v14, 0xa8, v0
	v_add_co_u32 v18, vcc_lo, v23, v2
	v_mov_b32_e32 v15, v1
	v_add_co_ci_u32_e32 v19, vcc_lo, v24, v3, vcc_lo
	v_lshlrev_b64 v[12:13], 3, v[12:13]
	s_waitcnt lgkmcnt(1)
	global_store_dwordx2 v[16:17], v[4:5], off
	ds_read2_b64 v[2:5], v20 offset0:96 offset1:152
	v_add_nc_u32_e32 v16, 0xe0, v0
	v_mov_b32_e32 v17, v1
	v_lshlrev_b64 v[14:15], 3, v[14:15]
	v_add_co_u32 v12, vcc_lo, v23, v12
	v_add_co_ci_u32_e32 v13, vcc_lo, v24, v13, vcc_lo
	v_lshlrev_b64 v[16:17], 3, v[16:17]
	v_add_co_u32 v14, vcc_lo, v23, v14
	v_add_co_ci_u32_e32 v15, vcc_lo, v24, v15, vcc_lo
	v_add_nc_u32_e32 v20, 0x118, v0
	v_add_co_u32 v16, vcc_lo, v23, v16
	v_add_co_ci_u32_e32 v17, vcc_lo, v24, v17, vcc_lo
	v_mov_b32_e32 v21, v1
	global_store_dwordx2 v[18:19], v[6:7], off
	s_waitcnt lgkmcnt(1)
	global_store_dwordx2 v[12:13], v[8:9], off
	global_store_dwordx2 v[14:15], v[10:11], off
	s_waitcnt lgkmcnt(0)
	global_store_dwordx2 v[16:17], v[2:3], off
	v_add_nc_u32_e32 v19, 0x800, v22
	v_add_nc_u32_e32 v10, 0x150, v0
	v_mov_b32_e32 v11, v1
	v_add_nc_u32_e32 v12, 0x188, v0
	v_mov_b32_e32 v13, v1
	v_lshlrev_b64 v[2:3], 3, v[20:21]
	ds_read2_b64 v[6:9], v19 offset0:80 offset1:136
	v_lshlrev_b64 v[14:15], 3, v[10:11]
	v_add_nc_u32_e32 v18, 0x1c0, v0
	v_lshlrev_b64 v[16:17], 3, v[12:13]
	ds_read2_b64 v[10:13], v19 offset0:192 offset1:248
	v_mov_b32_e32 v19, v1
	v_add_co_u32 v2, vcc_lo, v23, v2
	v_add_co_ci_u32_e32 v3, vcc_lo, v24, v3, vcc_lo
	v_add_co_u32 v14, vcc_lo, v23, v14
	v_lshlrev_b64 v[18:19], 3, v[18:19]
	v_add_co_ci_u32_e32 v15, vcc_lo, v24, v15, vcc_lo
	v_add_co_u32 v16, vcc_lo, v23, v16
	v_add_co_ci_u32_e32 v17, vcc_lo, v24, v17, vcc_lo
	v_add_nc_u32_e32 v20, 0x1f8, v0
	v_add_co_u32 v18, vcc_lo, v23, v18
	v_add_co_ci_u32_e32 v19, vcc_lo, v24, v19, vcc_lo
	global_store_dwordx2 v[2:3], v[4:5], off
	s_waitcnt lgkmcnt(1)
	global_store_dwordx2 v[14:15], v[6:7], off
	global_store_dwordx2 v[16:17], v[8:9], off
	s_waitcnt lgkmcnt(0)
	global_store_dwordx2 v[18:19], v[10:11], off
	v_lshlrev_b64 v[2:3], 3, v[20:21]
	v_add_nc_u32_e32 v20, 0x1000, v22
	v_add_nc_u32_e32 v6, 0x230, v0
	v_mov_b32_e32 v7, v1
	v_add_nc_u32_e32 v8, 0x268, v0
	v_mov_b32_e32 v9, v1
	v_add_co_u32 v10, vcc_lo, v23, v2
	v_add_co_ci_u32_e32 v11, vcc_lo, v24, v3, vcc_lo
	ds_read2_b64 v[2:5], v20 offset0:48 offset1:104
	v_lshlrev_b64 v[14:15], 3, v[6:7]
	v_lshlrev_b64 v[16:17], 3, v[8:9]
	v_add_nc_u32_e32 v18, 0x2a0, v0
	v_mov_b32_e32 v19, v1
	ds_read2_b64 v[6:9], v20 offset0:160 offset1:216
	v_add_nc_u32_e32 v0, 0x2d8, v0
	v_add_co_u32 v14, vcc_lo, v23, v14
	v_lshlrev_b64 v[18:19], 3, v[18:19]
	v_add_co_ci_u32_e32 v15, vcc_lo, v24, v15, vcc_lo
	v_add_co_u32 v16, vcc_lo, v23, v16
	v_lshlrev_b64 v[0:1], 3, v[0:1]
	v_add_co_ci_u32_e32 v17, vcc_lo, v24, v17, vcc_lo
	v_add_co_u32 v18, vcc_lo, v23, v18
	v_add_co_ci_u32_e32 v19, vcc_lo, v24, v19, vcc_lo
	v_add_co_u32 v0, vcc_lo, v23, v0
	v_add_co_ci_u32_e32 v1, vcc_lo, v24, v1, vcc_lo
	global_store_dwordx2 v[10:11], v[12:13], off
	s_waitcnt lgkmcnt(1)
	global_store_dwordx2 v[14:15], v[2:3], off
	global_store_dwordx2 v[16:17], v[4:5], off
	s_waitcnt lgkmcnt(0)
	global_store_dwordx2 v[18:19], v[6:7], off
	global_store_dwordx2 v[0:1], v[8:9], off
.LBB0_19:
	s_endpgm
	.section	.rodata,"a",@progbits
	.p2align	6, 0x0
	.amdhsa_kernel fft_rtc_fwd_len784_factors_2_2_2_2_7_7_wgs_56_tpt_56_halfLds_sp_ip_CI_unitstride_sbrr_C2R_dirReg
		.amdhsa_group_segment_fixed_size 0
		.amdhsa_private_segment_fixed_size 0
		.amdhsa_kernarg_size 88
		.amdhsa_user_sgpr_count 6
		.amdhsa_user_sgpr_private_segment_buffer 1
		.amdhsa_user_sgpr_dispatch_ptr 0
		.amdhsa_user_sgpr_queue_ptr 0
		.amdhsa_user_sgpr_kernarg_segment_ptr 1
		.amdhsa_user_sgpr_dispatch_id 0
		.amdhsa_user_sgpr_flat_scratch_init 0
		.amdhsa_user_sgpr_private_segment_size 0
		.amdhsa_wavefront_size32 1
		.amdhsa_uses_dynamic_stack 0
		.amdhsa_system_sgpr_private_segment_wavefront_offset 0
		.amdhsa_system_sgpr_workgroup_id_x 1
		.amdhsa_system_sgpr_workgroup_id_y 0
		.amdhsa_system_sgpr_workgroup_id_z 0
		.amdhsa_system_sgpr_workgroup_info 0
		.amdhsa_system_vgpr_workitem_id 0
		.amdhsa_next_free_vgpr 61
		.amdhsa_next_free_sgpr 21
		.amdhsa_reserve_vcc 1
		.amdhsa_reserve_flat_scratch 0
		.amdhsa_float_round_mode_32 0
		.amdhsa_float_round_mode_16_64 0
		.amdhsa_float_denorm_mode_32 3
		.amdhsa_float_denorm_mode_16_64 3
		.amdhsa_dx10_clamp 1
		.amdhsa_ieee_mode 1
		.amdhsa_fp16_overflow 0
		.amdhsa_workgroup_processor_mode 1
		.amdhsa_memory_ordered 1
		.amdhsa_forward_progress 0
		.amdhsa_shared_vgpr_count 0
		.amdhsa_exception_fp_ieee_invalid_op 0
		.amdhsa_exception_fp_denorm_src 0
		.amdhsa_exception_fp_ieee_div_zero 0
		.amdhsa_exception_fp_ieee_overflow 0
		.amdhsa_exception_fp_ieee_underflow 0
		.amdhsa_exception_fp_ieee_inexact 0
		.amdhsa_exception_int_div_zero 0
	.end_amdhsa_kernel
	.text
.Lfunc_end0:
	.size	fft_rtc_fwd_len784_factors_2_2_2_2_7_7_wgs_56_tpt_56_halfLds_sp_ip_CI_unitstride_sbrr_C2R_dirReg, .Lfunc_end0-fft_rtc_fwd_len784_factors_2_2_2_2_7_7_wgs_56_tpt_56_halfLds_sp_ip_CI_unitstride_sbrr_C2R_dirReg
                                        ; -- End function
	.section	.AMDGPU.csdata,"",@progbits
; Kernel info:
; codeLenInByte = 8540
; NumSgprs: 23
; NumVgprs: 61
; ScratchSize: 0
; MemoryBound: 0
; FloatMode: 240
; IeeeMode: 1
; LDSByteSize: 0 bytes/workgroup (compile time only)
; SGPRBlocks: 2
; VGPRBlocks: 7
; NumSGPRsForWavesPerEU: 23
; NumVGPRsForWavesPerEU: 61
; Occupancy: 16
; WaveLimiterHint : 1
; COMPUTE_PGM_RSRC2:SCRATCH_EN: 0
; COMPUTE_PGM_RSRC2:USER_SGPR: 6
; COMPUTE_PGM_RSRC2:TRAP_HANDLER: 0
; COMPUTE_PGM_RSRC2:TGID_X_EN: 1
; COMPUTE_PGM_RSRC2:TGID_Y_EN: 0
; COMPUTE_PGM_RSRC2:TGID_Z_EN: 0
; COMPUTE_PGM_RSRC2:TIDIG_COMP_CNT: 0
	.text
	.p2alignl 6, 3214868480
	.fill 48, 4, 3214868480
	.type	__hip_cuid_8a0020afea1d7174,@object ; @__hip_cuid_8a0020afea1d7174
	.section	.bss,"aw",@nobits
	.globl	__hip_cuid_8a0020afea1d7174
__hip_cuid_8a0020afea1d7174:
	.byte	0                               ; 0x0
	.size	__hip_cuid_8a0020afea1d7174, 1

	.ident	"AMD clang version 19.0.0git (https://github.com/RadeonOpenCompute/llvm-project roc-6.4.0 25133 c7fe45cf4b819c5991fe208aaa96edf142730f1d)"
	.section	".note.GNU-stack","",@progbits
	.addrsig
	.addrsig_sym __hip_cuid_8a0020afea1d7174
	.amdgpu_metadata
---
amdhsa.kernels:
  - .args:
      - .actual_access:  read_only
        .address_space:  global
        .offset:         0
        .size:           8
        .value_kind:     global_buffer
      - .offset:         8
        .size:           8
        .value_kind:     by_value
      - .actual_access:  read_only
        .address_space:  global
        .offset:         16
        .size:           8
        .value_kind:     global_buffer
      - .actual_access:  read_only
        .address_space:  global
        .offset:         24
        .size:           8
        .value_kind:     global_buffer
      - .offset:         32
        .size:           8
        .value_kind:     by_value
      - .actual_access:  read_only
        .address_space:  global
        .offset:         40
        .size:           8
        .value_kind:     global_buffer
      - .actual_access:  read_only
        .address_space:  global
        .offset:         48
        .size:           8
        .value_kind:     global_buffer
      - .offset:         56
        .size:           4
        .value_kind:     by_value
      - .actual_access:  read_only
        .address_space:  global
        .offset:         64
        .size:           8
        .value_kind:     global_buffer
      - .actual_access:  read_only
        .address_space:  global
        .offset:         72
        .size:           8
        .value_kind:     global_buffer
      - .address_space:  global
        .offset:         80
        .size:           8
        .value_kind:     global_buffer
    .group_segment_fixed_size: 0
    .kernarg_segment_align: 8
    .kernarg_segment_size: 88
    .language:       OpenCL C
    .language_version:
      - 2
      - 0
    .max_flat_workgroup_size: 56
    .name:           fft_rtc_fwd_len784_factors_2_2_2_2_7_7_wgs_56_tpt_56_halfLds_sp_ip_CI_unitstride_sbrr_C2R_dirReg
    .private_segment_fixed_size: 0
    .sgpr_count:     23
    .sgpr_spill_count: 0
    .symbol:         fft_rtc_fwd_len784_factors_2_2_2_2_7_7_wgs_56_tpt_56_halfLds_sp_ip_CI_unitstride_sbrr_C2R_dirReg.kd
    .uniform_work_group_size: 1
    .uses_dynamic_stack: false
    .vgpr_count:     61
    .vgpr_spill_count: 0
    .wavefront_size: 32
    .workgroup_processor_mode: 1
amdhsa.target:   amdgcn-amd-amdhsa--gfx1030
amdhsa.version:
  - 1
  - 2
...

	.end_amdgpu_metadata
